;; amdgpu-corpus repo=ROCm/rocFFT kind=compiled arch=gfx906 opt=O3
	.text
	.amdgcn_target "amdgcn-amd-amdhsa--gfx906"
	.amdhsa_code_object_version 6
	.protected	fft_rtc_fwd_len512_factors_8_8_8_wgs_256_tpt_64_dp_ip_CI_sbcc_dirReg_intrinsicRead ; -- Begin function fft_rtc_fwd_len512_factors_8_8_8_wgs_256_tpt_64_dp_ip_CI_sbcc_dirReg_intrinsicRead
	.globl	fft_rtc_fwd_len512_factors_8_8_8_wgs_256_tpt_64_dp_ip_CI_sbcc_dirReg_intrinsicRead
	.p2align	8
	.type	fft_rtc_fwd_len512_factors_8_8_8_wgs_256_tpt_64_dp_ip_CI_sbcc_dirReg_intrinsicRead,@function
fft_rtc_fwd_len512_factors_8_8_8_wgs_256_tpt_64_dp_ip_CI_sbcc_dirReg_intrinsicRead: ; @fft_rtc_fwd_len512_factors_8_8_8_wgs_256_tpt_64_dp_ip_CI_sbcc_dirReg_intrinsicRead
; %bb.0:
	s_load_dwordx4 s[0:3], s[4:5], 0x18
	s_mov_b32 s7, 0
	s_mov_b64 s[22:23], 0
	s_waitcnt lgkmcnt(0)
	s_load_dwordx2 s[14:15], s[0:1], 0x8
	s_waitcnt lgkmcnt(0)
	s_add_u32 s8, s14, -1
	s_addc_u32 s9, s15, -1
	s_lshr_b64 s[8:9], s[8:9], 2
	s_add_u32 s18, s8, 1
	s_addc_u32 s19, s9, 0
	v_mov_b32_e32 v1, s18
	v_mov_b32_e32 v2, s19
	v_cmp_lt_u64_e32 vcc, s[6:7], v[1:2]
	s_cbranch_vccnz .LBB0_2
; %bb.1:
	v_cvt_f32_u32_e32 v1, s18
	s_sub_i32 s8, 0, s18
	s_mov_b32 s23, s7
	v_rcp_iflag_f32_e32 v1, v1
	v_mul_f32_e32 v1, 0x4f7ffffe, v1
	v_cvt_u32_f32_e32 v1, v1
	v_readfirstlane_b32 s9, v1
	s_mul_i32 s8, s8, s9
	s_mul_hi_u32 s8, s9, s8
	s_add_i32 s9, s9, s8
	s_mul_hi_u32 s8, s6, s9
	s_mul_i32 s10, s8, s18
	s_sub_i32 s10, s6, s10
	s_add_i32 s9, s8, 1
	s_sub_i32 s11, s10, s18
	s_cmp_ge_u32 s10, s18
	s_cselect_b32 s8, s9, s8
	s_cselect_b32 s10, s11, s10
	s_add_i32 s9, s8, 1
	s_cmp_ge_u32 s10, s18
	s_cselect_b32 s22, s9, s8
.LBB0_2:
	s_load_dwordx2 s[16:17], s[4:5], 0x0
	s_load_dwordx4 s[8:11], s[2:3], 0x0
	s_mul_i32 s12, s22, s19
	s_mul_hi_u32 s13, s22, s18
	s_add_i32 s13, s13, s12
	s_mul_i32 s12, s22, s18
	s_sub_u32 s24, s6, s12
	s_subb_u32 s25, 0, s13
	v_mov_b32_e32 v1, s24
	v_alignbit_b32 v1, s25, v1, 30
	s_waitcnt lgkmcnt(0)
	v_mul_lo_u32 v1, s10, v1
	s_load_dwordx2 s[12:13], s[4:5], 0x58
	s_load_dwordx2 s[20:21], s[4:5], 0x10
	s_lshl_b64 s[4:5], s[24:25], 2
	s_mul_hi_u32 s24, s10, s4
	v_add_u32_e32 v1, s24, v1
	s_mul_i32 s24, s11, s4
	v_add_u32_e32 v4, s24, v1
	s_waitcnt lgkmcnt(0)
	v_cmp_lt_u64_e64 s[24:25], s[20:21], 3
	s_mul_i32 s26, s10, s4
	v_mov_b32_e32 v3, s26
	s_and_b64 vcc, exec, s[24:25]
	s_cbranch_vccnz .LBB0_11
; %bb.3:
	s_add_u32 s24, s2, 16
	s_addc_u32 s25, s3, 0
	s_add_u32 s26, s0, 16
	v_mov_b32_e32 v1, s20
	s_addc_u32 s27, s1, 0
	s_mov_b64 s[28:29], 2
	s_mov_b32 s30, 0
	v_mov_b32_e32 v2, s21
	s_branch .LBB0_5
.LBB0_4:                                ;   in Loop: Header=BB0_5 Depth=1
	s_mul_i32 s19, s34, s19
	s_mul_hi_u32 s31, s34, s18
	s_add_i32 s19, s31, s19
	s_mul_i32 s31, s35, s18
	s_add_i32 s19, s19, s31
	s_mul_i32 s31, s0, s35
	s_mul_hi_u32 s33, s0, s34
	s_load_dwordx2 s[36:37], s[24:25], 0x0
	s_add_i32 s31, s33, s31
	s_mul_i32 s33, s1, s34
	s_add_i32 s31, s31, s33
	s_mul_i32 s33, s0, s34
	s_sub_u32 s22, s22, s33
	s_subb_u32 s23, s23, s31
	s_waitcnt lgkmcnt(0)
	s_mul_i32 s23, s36, s23
	s_mul_hi_u32 s31, s36, s22
	s_add_i32 s23, s31, s23
	s_mul_i32 s31, s37, s22
	s_add_i32 s23, s23, s31
	s_mul_i32 s22, s36, s22
	s_add_u32 s28, s28, 1
	v_mov_b32_e32 v5, s23
	v_add_co_u32_e32 v3, vcc, s22, v3
	s_addc_u32 s29, s29, 0
	v_addc_co_u32_e32 v4, vcc, v5, v4, vcc
	s_add_u32 s24, s24, 8
	s_addc_u32 s25, s25, 0
	v_cmp_ge_u64_e32 vcc, s[28:29], v[1:2]
	s_add_u32 s26, s26, 8
	s_mul_i32 s18, s34, s18
	s_addc_u32 s27, s27, 0
	s_mov_b64 s[22:23], s[0:1]
	s_cbranch_vccnz .LBB0_9
.LBB0_5:                                ; =>This Inner Loop Header: Depth=1
	s_load_dwordx2 s[34:35], s[26:27], 0x0
	s_waitcnt lgkmcnt(0)
	s_or_b64 s[0:1], s[22:23], s[34:35]
	s_mov_b32 s31, s1
	s_cmp_lg_u64 s[30:31], 0
	s_cbranch_scc0 .LBB0_7
; %bb.6:                                ;   in Loop: Header=BB0_5 Depth=1
	v_cvt_f32_u32_e32 v5, s34
	v_cvt_f32_u32_e32 v6, s35
	s_sub_u32 s0, 0, s34
	s_subb_u32 s1, 0, s35
	v_mac_f32_e32 v5, 0x4f800000, v6
	v_rcp_f32_e32 v5, v5
	v_mul_f32_e32 v5, 0x5f7ffffc, v5
	v_mul_f32_e32 v6, 0x2f800000, v5
	v_trunc_f32_e32 v6, v6
	v_mac_f32_e32 v5, 0xcf800000, v6
	v_cvt_u32_f32_e32 v6, v6
	v_cvt_u32_f32_e32 v5, v5
	v_readfirstlane_b32 s31, v6
	v_readfirstlane_b32 s33, v5
	s_mul_i32 s36, s0, s31
	s_mul_hi_u32 s38, s0, s33
	s_mul_i32 s37, s1, s33
	s_add_i32 s36, s38, s36
	s_mul_i32 s39, s0, s33
	s_add_i32 s36, s36, s37
	s_mul_hi_u32 s37, s33, s36
	s_mul_i32 s38, s33, s36
	s_mul_hi_u32 s33, s33, s39
	s_add_u32 s33, s33, s38
	s_addc_u32 s37, 0, s37
	s_mul_hi_u32 s40, s31, s39
	s_mul_i32 s39, s31, s39
	s_add_u32 s33, s33, s39
	s_mul_hi_u32 s38, s31, s36
	s_addc_u32 s33, s37, s40
	s_addc_u32 s37, s38, 0
	s_mul_i32 s36, s31, s36
	s_add_u32 s33, s33, s36
	s_addc_u32 s36, 0, s37
	v_add_co_u32_e32 v5, vcc, s33, v5
	s_cmp_lg_u64 vcc, 0
	s_addc_u32 s31, s31, s36
	v_readfirstlane_b32 s36, v5
	s_mul_i32 s33, s0, s31
	s_mul_hi_u32 s37, s0, s36
	s_add_i32 s33, s37, s33
	s_mul_i32 s1, s1, s36
	s_add_i32 s33, s33, s1
	s_mul_i32 s0, s0, s36
	s_mul_hi_u32 s37, s31, s0
	s_mul_i32 s38, s31, s0
	s_mul_i32 s40, s36, s33
	s_mul_hi_u32 s0, s36, s0
	s_mul_hi_u32 s39, s36, s33
	s_add_u32 s0, s0, s40
	s_addc_u32 s36, 0, s39
	s_add_u32 s0, s0, s38
	s_mul_hi_u32 s1, s31, s33
	s_addc_u32 s0, s36, s37
	s_addc_u32 s1, s1, 0
	s_mul_i32 s33, s31, s33
	s_add_u32 s0, s0, s33
	s_addc_u32 s1, 0, s1
	v_add_co_u32_e32 v5, vcc, s0, v5
	s_cmp_lg_u64 vcc, 0
	s_addc_u32 s0, s31, s1
	v_readfirstlane_b32 s33, v5
	s_mul_i32 s31, s22, s0
	s_mul_hi_u32 s36, s22, s33
	s_mul_hi_u32 s1, s22, s0
	s_add_u32 s31, s36, s31
	s_addc_u32 s1, 0, s1
	s_mul_hi_u32 s37, s23, s33
	s_mul_i32 s33, s23, s33
	s_add_u32 s31, s31, s33
	s_mul_hi_u32 s36, s23, s0
	s_addc_u32 s1, s1, s37
	s_addc_u32 s31, s36, 0
	s_mul_i32 s0, s23, s0
	s_add_u32 s33, s1, s0
	s_addc_u32 s31, 0, s31
	s_mul_i32 s0, s34, s31
	s_mul_hi_u32 s1, s34, s33
	s_add_i32 s0, s1, s0
	s_mul_i32 s1, s35, s33
	s_add_i32 s36, s0, s1
	s_mul_i32 s1, s34, s33
	v_mov_b32_e32 v5, s1
	s_sub_i32 s0, s23, s36
	v_sub_co_u32_e32 v5, vcc, s22, v5
	s_cmp_lg_u64 vcc, 0
	s_subb_u32 s37, s0, s35
	v_subrev_co_u32_e64 v6, s[0:1], s34, v5
	s_cmp_lg_u64 s[0:1], 0
	s_subb_u32 s0, s37, 0
	s_cmp_ge_u32 s0, s35
	v_readfirstlane_b32 s37, v6
	s_cselect_b32 s1, -1, 0
	s_cmp_ge_u32 s37, s34
	s_cselect_b32 s37, -1, 0
	s_cmp_eq_u32 s0, s35
	s_cselect_b32 s0, s37, s1
	s_add_u32 s1, s33, 1
	s_addc_u32 s37, s31, 0
	s_add_u32 s38, s33, 2
	s_addc_u32 s39, s31, 0
	s_cmp_lg_u32 s0, 0
	s_cselect_b32 s0, s38, s1
	s_cselect_b32 s1, s39, s37
	s_cmp_lg_u64 vcc, 0
	s_subb_u32 s36, s23, s36
	s_cmp_ge_u32 s36, s35
	v_readfirstlane_b32 s38, v5
	s_cselect_b32 s37, -1, 0
	s_cmp_ge_u32 s38, s34
	s_cselect_b32 s38, -1, 0
	s_cmp_eq_u32 s36, s35
	s_cselect_b32 s36, s38, s37
	s_cmp_lg_u32 s36, 0
	s_cselect_b32 s1, s1, s31
	s_cselect_b32 s0, s0, s33
	s_cbranch_execnz .LBB0_4
	s_branch .LBB0_8
.LBB0_7:                                ;   in Loop: Header=BB0_5 Depth=1
                                        ; implicit-def: $sgpr0_sgpr1
.LBB0_8:                                ;   in Loop: Header=BB0_5 Depth=1
	v_cvt_f32_u32_e32 v5, s34
	s_sub_i32 s0, 0, s34
	v_rcp_iflag_f32_e32 v5, v5
	v_mul_f32_e32 v5, 0x4f7ffffe, v5
	v_cvt_u32_f32_e32 v5, v5
	v_readfirstlane_b32 s1, v5
	s_mul_i32 s0, s0, s1
	s_mul_hi_u32 s0, s1, s0
	s_add_i32 s1, s1, s0
	s_mul_hi_u32 s0, s22, s1
	s_mul_i32 s31, s0, s34
	s_sub_i32 s31, s22, s31
	s_add_i32 s1, s0, 1
	s_sub_i32 s33, s31, s34
	s_cmp_ge_u32 s31, s34
	s_cselect_b32 s0, s1, s0
	s_cselect_b32 s31, s33, s31
	s_add_i32 s1, s0, 1
	s_cmp_ge_u32 s31, s34
	s_cselect_b32 s0, s1, s0
	s_mov_b32 s1, s30
	s_branch .LBB0_4
.LBB0_9:
	v_mov_b32_e32 v1, s18
	v_mov_b32_e32 v2, s19
	v_cmp_lt_u64_e32 vcc, s[6:7], v[1:2]
	s_mov_b64 s[22:23], 0
	s_cbranch_vccnz .LBB0_11
; %bb.10:
	v_cvt_f32_u32_e32 v1, s18
	s_sub_i32 s0, 0, s18
	v_rcp_iflag_f32_e32 v1, v1
	v_mul_f32_e32 v1, 0x4f7ffffe, v1
	v_cvt_u32_f32_e32 v1, v1
	v_readfirstlane_b32 s1, v1
	s_mul_i32 s0, s0, s1
	s_mul_hi_u32 s0, s1, s0
	s_add_i32 s1, s1, s0
	s_mul_hi_u32 s0, s6, s1
	s_mul_i32 s7, s0, s18
	s_sub_i32 s6, s6, s7
	s_add_i32 s1, s0, 1
	s_sub_i32 s7, s6, s18
	s_cmp_ge_u32 s6, s18
	s_cselect_b32 s0, s1, s0
	s_cselect_b32 s6, s7, s6
	s_add_i32 s1, s0, 1
	s_cmp_ge_u32 s6, s18
	s_cselect_b32 s22, s1, s0
.LBB0_11:
	s_lshl_b64 s[0:1], s[20:21], 3
	s_add_u32 s0, s2, s0
	s_addc_u32 s1, s3, s1
	s_load_dwordx2 s[0:1], s[0:1], 0x0
	v_mov_b32_e32 v1, s14
	v_and_b32_e32 v5, 3, v0
	v_mov_b32_e32 v2, s15
	v_lshrrev_b32_e32 v6, 2, v0
	s_waitcnt lgkmcnt(0)
	s_mul_i32 s1, s1, s22
	s_mul_hi_u32 s3, s0, s22
	s_add_i32 s3, s3, s1
	s_mul_i32 s2, s0, s22
	s_add_u32 s0, s4, 4
	s_addc_u32 s1, s5, 0
	v_cmp_le_u64_e32 vcc, s[0:1], v[1:2]
	v_mad_u64_u32 v[1:2], s[0:1], s10, v5, 0
	v_mul_lo_u32 v9, s8, v6
	v_or_b32_e32 v7, s4, v5
	v_mov_b32_e32 v8, s5
	v_cmp_gt_u64_e64 s[0:1], s[14:15], v[7:8]
	v_add_lshl_u32 v7, v1, v9, 4
	v_mov_b32_e32 v8, s3
	v_add_co_u32_e64 v3, s[2:3], s2, v3
	s_or_b64 vcc, vcc, s[0:1]
	v_addc_co_u32_e64 v4, s[2:3], v8, v4, s[2:3]
	v_lshlrev_b32_e32 v8, 4, v3
	v_cndmask_b32_e32 v19, -1, v7, vcc
	v_or_b32_e32 v7, 0x100, v6
	v_mul_lo_u32 v7, s8, v7
	v_readfirstlane_b32 s0, v8
	v_or_b32_e32 v8, 64, v6
	v_or_b32_e32 v9, 0x140, v6
	v_mul_lo_u32 v8, s8, v8
	v_mul_lo_u32 v9, s8, v9
	v_add_lshl_u32 v7, v1, v7, 4
	v_or_b32_e32 v10, 0x180, v6
	v_cndmask_b32_e32 v27, -1, v7, vcc
	v_add_lshl_u32 v7, v1, v8, 4
	v_add_lshl_u32 v8, v1, v9, 4
	v_or_b32_e32 v9, 0x80, v6
	v_mul_lo_u32 v10, s8, v10
	v_mul_lo_u32 v9, s8, v9
	v_cndmask_b32_e32 v28, -1, v8, vcc
	s_mov_b32 s15, 0x20000
	v_add_lshl_u32 v8, v1, v10, 4
	s_mov_b32 s14, -2
	v_cndmask_b32_e32 v20, -1, v7, vcc
	v_add_lshl_u32 v7, v1, v9, 4
	v_cndmask_b32_e32 v21, -1, v8, vcc
	v_cndmask_b32_e32 v29, -1, v7, vcc
	buffer_load_dwordx4 v[7:10], v21, s[12:15], s0 offen
	buffer_load_dwordx4 v[11:14], v19, s[12:15], s0 offen
	buffer_load_dwordx4 v[15:18], v20, s[12:15], s0 offen
	v_or_b32_e32 v19, 0xc0, v6
	v_or_b32_e32 v20, 0x1c0, v6
	v_mul_lo_u32 v30, s8, v19
	v_mul_lo_u32 v31, s8, v20
	buffer_load_dwordx4 v[19:22], v27, s[12:15], s0 offen
	buffer_load_dwordx4 v[23:26], v28, s[12:15], s0 offen
	v_bfe_u32 v56, v0, 2, 3
	v_add_lshl_u32 v32, v1, v30, 4
	v_add_lshl_u32 v31, v1, v31, 4
	v_cndmask_b32_e32 v39, -1, v32, vcc
	buffer_load_dwordx4 v[27:30], v29, s[12:15], s0 offen
	v_cndmask_b32_e32 v40, -1, v31, vcc
	buffer_load_dwordx4 v[31:34], v39, s[12:15], s0 offen
	buffer_load_dwordx4 v[35:38], v40, s[12:15], s0 offen
	v_lshlrev_b32_e32 v39, 9, v6
	v_lshlrev_b32_e32 v57, 4, v5
	v_mul_u32_u24_e32 v40, 7, v56
	v_add3_u32 v51, 0, v39, v57
	v_lshlrev_b32_e32 v52, 4, v40
	s_mov_b32 s0, 0x667f3bcd
	s_mov_b32 s1, 0xbfe6a09e
	;; [unrolled: 1-line block ×4, first 2 shown]
	s_movk_i32 s4, 0xfe40
	s_waitcnt vmcnt(4)
	v_add_f64 v[19:20], v[11:12], -v[19:20]
	v_add_f64 v[21:22], v[13:14], -v[21:22]
	s_waitcnt vmcnt(3)
	v_add_f64 v[23:24], v[15:16], -v[23:24]
	v_add_f64 v[25:26], v[17:18], -v[25:26]
	;; [unrolled: 3-line block ×4, first 2 shown]
	v_fma_f64 v[11:12], v[11:12], 2.0, -v[19:20]
	v_fma_f64 v[13:14], v[13:14], 2.0, -v[21:22]
	;; [unrolled: 1-line block ×8, first 2 shown]
	v_add_f64 v[39:40], v[23:24], -v[37:38]
	v_add_f64 v[41:42], v[25:26], v[35:36]
	v_add_f64 v[35:36], v[19:20], -v[9:10]
	v_add_f64 v[37:38], v[21:22], v[7:8]
	v_add_f64 v[27:28], v[11:12], -v[27:28]
	v_add_f64 v[29:30], v[13:14], -v[29:30]
	;; [unrolled: 1-line block ×4, first 2 shown]
	v_fma_f64 v[23:24], v[23:24], 2.0, -v[39:40]
	v_fma_f64 v[25:26], v[25:26], 2.0, -v[41:42]
	;; [unrolled: 1-line block ×4, first 2 shown]
	v_fma_f64 v[19:20], v[41:42], s[2:3], v[37:38]
	v_fma_f64 v[21:22], v[39:40], s[2:3], v[35:36]
	v_fma_f64 v[31:32], v[11:12], 2.0, -v[27:28]
	v_fma_f64 v[33:34], v[13:14], 2.0, -v[29:30]
	;; [unrolled: 1-line block ×4, first 2 shown]
	v_fma_f64 v[47:48], v[23:24], s[0:1], v[43:44]
	v_fma_f64 v[49:50], v[25:26], s[0:1], v[45:46]
	v_add_f64 v[7:8], v[27:28], -v[7:8]
	v_add_f64 v[9:10], v[29:30], v[9:10]
	v_fma_f64 v[11:12], v[41:42], s[0:1], v[21:22]
	v_fma_f64 v[13:14], v[39:40], s[2:3], v[19:20]
	v_add_f64 v[15:16], v[31:32], -v[15:16]
	v_add_f64 v[17:18], v[33:34], -v[17:18]
	v_fma_f64 v[19:20], v[25:26], s[0:1], v[47:48]
	v_fma_f64 v[21:22], v[23:24], s[2:3], v[49:50]
	v_fma_f64 v[23:24], v[27:28], 2.0, -v[7:8]
	v_fma_f64 v[25:26], v[29:30], 2.0, -v[9:10]
	;; [unrolled: 1-line block ×8, first 2 shown]
	ds_write_b128 v51, v[7:10] offset:384
	ds_write_b128 v51, v[11:14] offset:448
	;; [unrolled: 1-line block ×6, first 2 shown]
	ds_write_b128 v51, v[31:34]
	ds_write_b128 v51, v[35:38] offset:64
	s_waitcnt lgkmcnt(0)
	s_barrier
	global_load_dwordx4 v[8:11], v52, s[16:17]
	global_load_dwordx4 v[12:15], v52, s[16:17] offset:16
	global_load_dwordx4 v[16:19], v52, s[16:17] offset:32
	;; [unrolled: 1-line block ×6, first 2 shown]
	v_mad_i32_i24 v7, v6, s4, v51
	ds_read_b128 v[36:39], v7 offset:4096
	ds_read_b128 v[40:43], v7
	ds_read_b128 v[44:47], v7 offset:8192
	ds_read_b128 v[48:51], v7 offset:12288
	s_movk_i32 s4, 0x1c0
	v_lshlrev_b32_e32 v6, 1, v0
	s_waitcnt vmcnt(6) lgkmcnt(3)
	v_mul_f64 v[52:53], v[38:39], v[10:11]
	v_mul_f64 v[10:11], v[36:37], v[10:11]
	s_waitcnt vmcnt(5) lgkmcnt(1)
	v_mul_f64 v[54:55], v[46:47], v[14:15]
	v_fma_f64 v[36:37], v[36:37], v[8:9], -v[52:53]
	v_fma_f64 v[38:39], v[38:39], v[8:9], v[10:11]
	v_mul_f64 v[8:9], v[44:45], v[14:15]
	s_waitcnt vmcnt(4) lgkmcnt(0)
	v_mul_f64 v[52:53], v[50:51], v[18:19]
	v_mul_f64 v[18:19], v[48:49], v[18:19]
	v_fma_f64 v[44:45], v[44:45], v[12:13], -v[54:55]
	v_fma_f64 v[46:47], v[46:47], v[12:13], v[8:9]
	ds_read_b128 v[8:11], v7 offset:16384
	ds_read_b128 v[12:15], v7 offset:20480
	v_fma_f64 v[48:49], v[48:49], v[16:17], -v[52:53]
	v_fma_f64 v[50:51], v[50:51], v[16:17], v[18:19]
	ds_read_b128 v[16:19], v7 offset:24576
	s_waitcnt vmcnt(3) lgkmcnt(2)
	v_mul_f64 v[54:55], v[10:11], v[22:23]
	v_mul_f64 v[22:23], v[8:9], v[22:23]
	v_fma_f64 v[52:53], v[8:9], v[20:21], -v[54:55]
	v_fma_f64 v[20:21], v[10:11], v[20:21], v[22:23]
	ds_read_b128 v[8:11], v7 offset:28672
	s_waitcnt vmcnt(2) lgkmcnt(1)
	v_mul_f64 v[22:23], v[18:19], v[26:27]
	v_mul_f64 v[26:27], v[16:17], v[26:27]
	v_and_or_b32 v54, v6, s4, v56
	v_lshlrev_b32_e32 v56, 6, v54
	s_waitcnt vmcnt(1)
	v_mul_f64 v[54:55], v[14:15], v[30:31]
	v_add3_u32 v56, 0, v56, v57
	v_add_f64 v[20:21], v[42:43], -v[20:21]
	s_waitcnt lgkmcnt(0)
	v_fma_f64 v[16:17], v[16:17], v[24:25], -v[22:23]
	v_fma_f64 v[18:19], v[18:19], v[24:25], v[26:27]
	v_mul_f64 v[22:23], v[12:13], v[30:31]
	s_waitcnt vmcnt(0)
	v_mul_f64 v[24:25], v[8:9], v[34:35]
	v_mul_f64 v[26:27], v[10:11], v[34:35]
	v_fma_f64 v[12:13], v[12:13], v[28:29], -v[54:55]
	s_barrier
	v_add_f64 v[16:17], v[44:45], -v[16:17]
	v_add_f64 v[18:19], v[46:47], -v[18:19]
	v_fma_f64 v[14:15], v[14:15], v[28:29], v[22:23]
	v_fma_f64 v[10:11], v[10:11], v[32:33], v[24:25]
	v_fma_f64 v[8:9], v[8:9], v[32:33], -v[26:27]
	v_add_f64 v[22:23], v[40:41], -v[52:53]
	v_add_f64 v[12:13], v[36:37], -v[12:13]
	v_fma_f64 v[26:27], v[42:43], 2.0, -v[20:21]
	v_add_f64 v[30:31], v[20:21], v[16:17]
	v_fma_f64 v[16:17], v[44:45], 2.0, -v[16:17]
	v_add_f64 v[14:15], v[38:39], -v[14:15]
	v_add_f64 v[10:11], v[50:51], -v[10:11]
	v_add_f64 v[8:9], v[48:49], -v[8:9]
	v_fma_f64 v[24:25], v[40:41], 2.0, -v[22:23]
	v_add_f64 v[28:29], v[22:23], -v[18:19]
	v_fma_f64 v[18:19], v[46:47], 2.0, -v[18:19]
	v_fma_f64 v[32:33], v[36:37], 2.0, -v[12:13]
	;; [unrolled: 1-line block ×6, first 2 shown]
	v_add_f64 v[40:41], v[12:13], -v[10:11]
	v_add_f64 v[42:43], v[14:15], v[8:9]
	v_add_f64 v[48:49], v[24:25], -v[16:17]
	v_add_f64 v[50:51], v[26:27], -v[18:19]
	v_fma_f64 v[44:45], v[22:23], 2.0, -v[28:29]
	v_add_f64 v[8:9], v[34:35], -v[38:39]
	v_add_f64 v[10:11], v[32:33], -v[36:37]
	v_fma_f64 v[22:23], v[12:13], 2.0, -v[40:41]
	v_fma_f64 v[20:21], v[14:15], 2.0, -v[42:43]
	v_fma_f64 v[12:13], v[40:41], s[2:3], v[28:29]
	v_fma_f64 v[14:15], v[42:43], s[2:3], v[30:31]
	v_fma_f64 v[36:37], v[24:25], 2.0, -v[48:49]
	v_fma_f64 v[38:39], v[26:27], 2.0, -v[50:51]
	v_fma_f64 v[18:19], v[34:35], 2.0, -v[8:9]
	v_fma_f64 v[16:17], v[32:33], 2.0, -v[10:11]
	v_fma_f64 v[24:25], v[22:23], s[0:1], v[44:45]
	v_fma_f64 v[26:27], v[20:21], s[0:1], v[46:47]
	v_add_f64 v[8:9], v[48:49], -v[8:9]
	v_add_f64 v[10:11], v[50:51], v[10:11]
	v_fma_f64 v[12:13], v[42:43], s[0:1], v[12:13]
	v_fma_f64 v[14:15], v[40:41], s[2:3], v[14:15]
	v_add_f64 v[18:19], v[38:39], -v[18:19]
	v_add_f64 v[16:17], v[36:37], -v[16:17]
	v_fma_f64 v[20:21], v[20:21], s[0:1], v[24:25]
	v_fma_f64 v[22:23], v[22:23], s[2:3], v[26:27]
	v_fma_f64 v[24:25], v[48:49], 2.0, -v[8:9]
	v_fma_f64 v[26:27], v[50:51], 2.0, -v[10:11]
	v_fma_f64 v[28:29], v[28:29], 2.0, -v[12:13]
	v_fma_f64 v[30:31], v[30:31], 2.0, -v[14:15]
	v_fma_f64 v[34:35], v[38:39], 2.0, -v[18:19]
	v_fma_f64 v[32:33], v[36:37], 2.0, -v[16:17]
	v_fma_f64 v[36:37], v[44:45], 2.0, -v[20:21]
	v_fma_f64 v[38:39], v[46:47], 2.0, -v[22:23]
	ds_write_b128 v56, v[8:11] offset:3072
	ds_write_b128 v56, v[12:15] offset:3584
	;; [unrolled: 1-line block ×6, first 2 shown]
	ds_write_b128 v56, v[32:35]
	ds_write_b128 v56, v[36:39] offset:512
	s_waitcnt lgkmcnt(0)
	s_barrier
	s_and_saveexec_b64 s[4:5], vcc
	s_cbranch_execz .LBB0_13
; %bb.12:
	v_bfe_u32 v60, v0, 2, 6
	v_mul_u32_u24_e32 v0, 7, v60
	v_lshlrev_b32_e32 v0, 4, v0
	global_load_dwordx4 v[8:11], v0, s[16:17] offset:896
	global_load_dwordx4 v[12:15], v0, s[16:17] offset:960
	;; [unrolled: 1-line block ×7, first 2 shown]
	ds_read_b128 v[36:39], v7 offset:4096
	ds_read_b128 v[40:43], v7
	ds_read_b128 v[44:47], v7 offset:20480
	ds_read_b128 v[48:51], v7 offset:16384
	v_mov_b32_e32 v0, v2
	v_lshlrev_b64 v[2:3], 4, v[3:4]
	s_waitcnt vmcnt(6) lgkmcnt(3)
	v_mul_f64 v[52:53], v[38:39], v[10:11]
	v_mul_f64 v[10:11], v[36:37], v[10:11]
	s_waitcnt vmcnt(5) lgkmcnt(1)
	v_mul_f64 v[54:55], v[46:47], v[14:15]
	v_mul_f64 v[14:15], v[44:45], v[14:15]
	v_fma_f64 v[52:53], v[36:37], v[8:9], -v[52:53]
	v_fma_f64 v[56:57], v[38:39], v[8:9], v[10:11]
	ds_read_b128 v[8:11], v7 offset:12288
	ds_read_b128 v[36:39], v7 offset:8192
	v_fma_f64 v[44:45], v[44:45], v[12:13], -v[54:55]
	v_fma_f64 v[46:47], v[46:47], v[12:13], v[14:15]
	v_mad_u64_u32 v[54:55], s[4:5], s11, v5, v[0:1]
	s_waitcnt vmcnt(4) lgkmcnt(1)
	v_mul_f64 v[12:13], v[8:9], v[18:19]
	v_mul_f64 v[14:15], v[10:11], v[18:19]
	s_movk_i32 s4, 0x600
	v_and_or_b32 v55, v6, s4, v60
	v_mov_b32_e32 v0, s13
	v_or_b32_e32 v60, 0x80, v55
	v_or_b32_e32 v61, 0xc0, v55
	v_fma_f64 v[18:19], v[10:11], v[16:17], v[12:13]
	v_fma_f64 v[16:17], v[8:9], v[16:17], -v[14:15]
	ds_read_b128 v[8:11], v7 offset:28672
	ds_read_b128 v[12:15], v7 offset:24576
	s_waitcnt vmcnt(3) lgkmcnt(1)
	v_mul_f64 v[58:59], v[8:9], v[22:23]
	v_mul_f64 v[22:23], v[10:11], v[22:23]
	v_fma_f64 v[4:5], v[10:11], v[20:21], v[58:59]
	v_fma_f64 v[6:7], v[8:9], v[20:21], -v[22:23]
	s_waitcnt vmcnt(2)
	v_mul_f64 v[10:11], v[48:49], v[26:27]
	v_mul_f64 v[20:21], v[50:51], v[26:27]
	s_waitcnt vmcnt(1)
	v_mul_f64 v[22:23], v[38:39], v[30:31]
	v_mad_u64_u32 v[8:9], s[4:5], s8, v55, 0
	v_add_co_u32_e32 v58, vcc, s12, v2
	v_mov_b32_e32 v2, v54
	v_fma_f64 v[10:11], v[50:51], v[24:25], v[10:11]
	v_fma_f64 v[20:21], v[48:49], v[24:25], -v[20:21]
	v_mul_f64 v[24:25], v[36:37], v[30:31]
	v_fma_f64 v[22:23], v[36:37], v[28:29], -v[22:23]
	v_lshlrev_b64 v[1:2], 4, v[1:2]
	v_addc_co_u32_e32 v3, vcc, v0, v3, vcc
	v_mov_b32_e32 v0, v9
	v_add_co_u32_e32 v54, vcc, v58, v1
	v_fma_f64 v[24:25], v[38:39], v[28:29], v[24:25]
	s_waitcnt vmcnt(0) lgkmcnt(0)
	v_mul_f64 v[28:29], v[14:15], v[34:35]
	v_mad_u64_u32 v[30:31], s[4:5], s9, v55, v[0:1]
	v_addc_co_u32_e32 v58, vcc, v3, v2, vcc
	v_mul_f64 v[34:35], v[12:13], v[34:35]
	v_or_b32_e32 v59, 64, v55
	v_mad_u64_u32 v[26:27], s[4:5], s8, v59, 0
	v_fma_f64 v[1:2], v[12:13], v[32:33], -v[28:29]
	v_mad_u64_u32 v[48:49], s[4:5], s8, v60, 0
	v_mov_b32_e32 v0, v27
	v_add_f64 v[10:11], v[42:43], -v[10:11]
	v_mov_b32_e32 v3, v49
	v_mad_u64_u32 v[36:37], s[4:5], s9, v60, v[3:4]
	v_mad_u64_u32 v[12:13], s[4:5], s9, v59, v[0:1]
	v_fma_f64 v[13:14], v[14:15], v[32:33], v[34:35]
	v_add_f64 v[0:1], v[22:23], -v[1:2]
	v_add_f64 v[2:3], v[52:53], -v[44:45]
	;; [unrolled: 1-line block ×6, first 2 shown]
	v_mov_b32_e32 v9, v30
	v_add_f64 v[13:14], v[24:25], -v[13:14]
	v_mov_b32_e32 v27, v12
	v_add_f64 v[30:31], v[10:11], v[0:1]
	v_add_f64 v[32:33], v[2:3], -v[4:5]
	v_fma_f64 v[42:43], v[42:43], 2.0, -v[10:11]
	v_add_f64 v[34:35], v[28:29], v[6:7]
	v_fma_f64 v[4:5], v[18:19], 2.0, -v[4:5]
	v_fma_f64 v[0:1], v[22:23], 2.0, -v[0:1]
	v_add_f64 v[37:38], v[20:21], -v[13:14]
	v_fma_f64 v[12:13], v[24:25], 2.0, -v[13:14]
	v_fma_f64 v[14:15], v[52:53], 2.0, -v[2:3]
	;; [unrolled: 1-line block ×9, first 2 shown]
	v_add_f64 v[28:29], v[42:43], -v[12:13]
	v_add_f64 v[44:45], v[24:25], -v[0:1]
	;; [unrolled: 1-line block ×4, first 2 shown]
	v_fma_f64 v[22:23], v[34:35], s[2:3], v[30:31]
	v_fma_f64 v[46:47], v[32:33], s[2:3], v[37:38]
	v_fma_f64 v[0:1], v[10:11], s[0:1], v[16:17]
	v_fma_f64 v[4:5], v[2:3], s[0:1], v[20:21]
	v_fma_f64 v[41:42], v[42:43], 2.0, -v[28:29]
	v_fma_f64 v[24:25], v[24:25], 2.0, -v[44:45]
	;; [unrolled: 1-line block ×4, first 2 shown]
	v_add_f64 v[12:13], v[44:45], -v[12:13]
	v_lshlrev_b64 v[8:9], 4, v[8:9]
	v_fma_f64 v[2:3], v[2:3], s[2:3], v[0:1]
	v_fma_f64 v[0:1], v[10:11], s[0:1], v[4:5]
	;; [unrolled: 1-line block ×3, first 2 shown]
	v_mad_u64_u32 v[50:51], s[4:5], s8, v61, 0
	v_add_f64 v[6:7], v[41:42], -v[6:7]
	v_add_f64 v[4:5], v[24:25], -v[14:15]
	v_add_f64 v[14:15], v[28:29], v[18:19]
	v_fma_f64 v[18:19], v[16:17], 2.0, -v[2:3]
	v_fma_f64 v[16:17], v[20:21], 2.0, -v[0:1]
	v_add_co_u32_e32 v39, vcc, v54, v8
	v_lshlrev_b64 v[26:27], 4, v[26:27]
	v_fma_f64 v[22:23], v[41:42], 2.0, -v[6:7]
	v_fma_f64 v[20:21], v[24:25], 2.0, -v[4:5]
	v_addc_co_u32_e32 v40, vcc, v58, v9, vcc
	v_fma_f64 v[8:9], v[34:35], s[0:1], v[46:47]
	v_add_co_u32_e32 v32, vcc, v54, v26
	v_addc_co_u32_e32 v33, vcc, v58, v27, vcc
	global_store_dwordx4 v[39:40], v[20:23], off
	global_store_dwordx4 v[32:33], v[16:19], off
	v_fma_f64 v[26:27], v[30:31], 2.0, -v[10:11]
	v_mov_b32_e32 v18, v51
	v_fma_f64 v[30:31], v[28:29], 2.0, -v[14:15]
	v_fma_f64 v[28:29], v[44:45], 2.0, -v[12:13]
	v_mad_u64_u32 v[18:19], s[0:1], s9, v61, v[18:19]
	v_mov_b32_e32 v49, v36
	v_or_b32_e32 v20, 0x100, v55
	v_fma_f64 v[24:25], v[37:38], 2.0, -v[8:9]
	v_lshlrev_b64 v[16:17], 4, v[48:49]
	v_mov_b32_e32 v51, v18
	v_mad_u64_u32 v[18:19], s[0:1], s8, v20, 0
	v_add_co_u32_e32 v16, vcc, v54, v16
	v_addc_co_u32_e32 v17, vcc, v58, v17, vcc
	global_store_dwordx4 v[16:17], v[28:31], off
	v_lshlrev_b64 v[16:17], 4, v[50:51]
	v_mad_u64_u32 v[19:20], s[0:1], s9, v20, v[19:20]
	v_add_co_u32_e32 v16, vcc, v54, v16
	v_addc_co_u32_e32 v17, vcc, v58, v17, vcc
	v_or_b32_e32 v22, 0x140, v55
	v_mad_u64_u32 v[20:21], s[0:1], s8, v22, 0
	global_store_dwordx4 v[16:17], v[24:27], off
	v_lshlrev_b64 v[16:17], 4, v[18:19]
	v_mov_b32_e32 v18, v21
	v_add_co_u32_e32 v16, vcc, v54, v16
	v_addc_co_u32_e32 v17, vcc, v58, v17, vcc
	global_store_dwordx4 v[16:17], v[4:7], off
	v_or_b32_e32 v16, 0x180, v55
	v_mad_u64_u32 v[18:19], s[0:1], s9, v22, v[18:19]
	v_mad_u64_u32 v[6:7], s[0:1], s8, v16, 0
	v_mov_b32_e32 v21, v18
	v_or_b32_e32 v19, 0x1c0, v55
	v_mad_u64_u32 v[16:17], s[0:1], s9, v16, v[7:8]
	v_lshlrev_b64 v[4:5], 4, v[20:21]
	v_mad_u64_u32 v[17:18], s[0:1], s8, v19, 0
	v_add_co_u32_e32 v4, vcc, v54, v4
	v_addc_co_u32_e32 v5, vcc, v58, v5, vcc
	global_store_dwordx4 v[4:5], v[0:3], off
	v_mov_b32_e32 v7, v16
	v_mov_b32_e32 v2, v18
	v_mad_u64_u32 v[2:3], s[0:1], s9, v19, v[2:3]
	v_lshlrev_b64 v[0:1], 4, v[6:7]
	v_add_co_u32_e32 v0, vcc, v54, v0
	v_addc_co_u32_e32 v1, vcc, v58, v1, vcc
	v_mov_b32_e32 v18, v2
	global_store_dwordx4 v[0:1], v[12:15], off
	v_lshlrev_b64 v[0:1], 4, v[17:18]
	v_add_co_u32_e32 v0, vcc, v54, v0
	v_addc_co_u32_e32 v1, vcc, v58, v1, vcc
	global_store_dwordx4 v[0:1], v[8:11], off
.LBB0_13:
	s_endpgm
	.section	.rodata,"a",@progbits
	.p2align	6, 0x0
	.amdhsa_kernel fft_rtc_fwd_len512_factors_8_8_8_wgs_256_tpt_64_dp_ip_CI_sbcc_dirReg_intrinsicRead
		.amdhsa_group_segment_fixed_size 0
		.amdhsa_private_segment_fixed_size 0
		.amdhsa_kernarg_size 96
		.amdhsa_user_sgpr_count 6
		.amdhsa_user_sgpr_private_segment_buffer 1
		.amdhsa_user_sgpr_dispatch_ptr 0
		.amdhsa_user_sgpr_queue_ptr 0
		.amdhsa_user_sgpr_kernarg_segment_ptr 1
		.amdhsa_user_sgpr_dispatch_id 0
		.amdhsa_user_sgpr_flat_scratch_init 0
		.amdhsa_user_sgpr_private_segment_size 0
		.amdhsa_uses_dynamic_stack 0
		.amdhsa_system_sgpr_private_segment_wavefront_offset 0
		.amdhsa_system_sgpr_workgroup_id_x 1
		.amdhsa_system_sgpr_workgroup_id_y 0
		.amdhsa_system_sgpr_workgroup_id_z 0
		.amdhsa_system_sgpr_workgroup_info 0
		.amdhsa_system_vgpr_workitem_id 0
		.amdhsa_next_free_vgpr 62
		.amdhsa_next_free_sgpr 41
		.amdhsa_reserve_vcc 1
		.amdhsa_reserve_flat_scratch 0
		.amdhsa_float_round_mode_32 0
		.amdhsa_float_round_mode_16_64 0
		.amdhsa_float_denorm_mode_32 3
		.amdhsa_float_denorm_mode_16_64 3
		.amdhsa_dx10_clamp 1
		.amdhsa_ieee_mode 1
		.amdhsa_fp16_overflow 0
		.amdhsa_exception_fp_ieee_invalid_op 0
		.amdhsa_exception_fp_denorm_src 0
		.amdhsa_exception_fp_ieee_div_zero 0
		.amdhsa_exception_fp_ieee_overflow 0
		.amdhsa_exception_fp_ieee_underflow 0
		.amdhsa_exception_fp_ieee_inexact 0
		.amdhsa_exception_int_div_zero 0
	.end_amdhsa_kernel
	.text
.Lfunc_end0:
	.size	fft_rtc_fwd_len512_factors_8_8_8_wgs_256_tpt_64_dp_ip_CI_sbcc_dirReg_intrinsicRead, .Lfunc_end0-fft_rtc_fwd_len512_factors_8_8_8_wgs_256_tpt_64_dp_ip_CI_sbcc_dirReg_intrinsicRead
                                        ; -- End function
	.section	.AMDGPU.csdata,"",@progbits
; Kernel info:
; codeLenInByte = 4364
; NumSgprs: 45
; NumVgprs: 62
; ScratchSize: 0
; MemoryBound: 0
; FloatMode: 240
; IeeeMode: 1
; LDSByteSize: 0 bytes/workgroup (compile time only)
; SGPRBlocks: 5
; VGPRBlocks: 15
; NumSGPRsForWavesPerEU: 45
; NumVGPRsForWavesPerEU: 62
; Occupancy: 4
; WaveLimiterHint : 1
; COMPUTE_PGM_RSRC2:SCRATCH_EN: 0
; COMPUTE_PGM_RSRC2:USER_SGPR: 6
; COMPUTE_PGM_RSRC2:TRAP_HANDLER: 0
; COMPUTE_PGM_RSRC2:TGID_X_EN: 1
; COMPUTE_PGM_RSRC2:TGID_Y_EN: 0
; COMPUTE_PGM_RSRC2:TGID_Z_EN: 0
; COMPUTE_PGM_RSRC2:TIDIG_COMP_CNT: 0
	.type	__hip_cuid_8e78e9129d1d2aeb,@object ; @__hip_cuid_8e78e9129d1d2aeb
	.section	.bss,"aw",@nobits
	.globl	__hip_cuid_8e78e9129d1d2aeb
__hip_cuid_8e78e9129d1d2aeb:
	.byte	0                               ; 0x0
	.size	__hip_cuid_8e78e9129d1d2aeb, 1

	.ident	"AMD clang version 19.0.0git (https://github.com/RadeonOpenCompute/llvm-project roc-6.4.0 25133 c7fe45cf4b819c5991fe208aaa96edf142730f1d)"
	.section	".note.GNU-stack","",@progbits
	.addrsig
	.addrsig_sym __hip_cuid_8e78e9129d1d2aeb
	.amdgpu_metadata
---
amdhsa.kernels:
  - .args:
      - .actual_access:  read_only
        .address_space:  global
        .offset:         0
        .size:           8
        .value_kind:     global_buffer
      - .address_space:  global
        .offset:         8
        .size:           8
        .value_kind:     global_buffer
      - .offset:         16
        .size:           8
        .value_kind:     by_value
      - .actual_access:  read_only
        .address_space:  global
        .offset:         24
        .size:           8
        .value_kind:     global_buffer
      - .actual_access:  read_only
        .address_space:  global
        .offset:         32
        .size:           8
        .value_kind:     global_buffer
      - .offset:         40
        .size:           8
        .value_kind:     by_value
      - .actual_access:  read_only
        .address_space:  global
        .offset:         48
        .size:           8
        .value_kind:     global_buffer
      - .actual_access:  read_only
        .address_space:  global
        .offset:         56
        .size:           8
        .value_kind:     global_buffer
      - .offset:         64
        .size:           4
        .value_kind:     by_value
      - .actual_access:  read_only
        .address_space:  global
        .offset:         72
        .size:           8
        .value_kind:     global_buffer
      - .actual_access:  read_only
        .address_space:  global
        .offset:         80
        .size:           8
        .value_kind:     global_buffer
      - .address_space:  global
        .offset:         88
        .size:           8
        .value_kind:     global_buffer
    .group_segment_fixed_size: 0
    .kernarg_segment_align: 8
    .kernarg_segment_size: 96
    .language:       OpenCL C
    .language_version:
      - 2
      - 0
    .max_flat_workgroup_size: 256
    .name:           fft_rtc_fwd_len512_factors_8_8_8_wgs_256_tpt_64_dp_ip_CI_sbcc_dirReg_intrinsicRead
    .private_segment_fixed_size: 0
    .sgpr_count:     45
    .sgpr_spill_count: 0
    .symbol:         fft_rtc_fwd_len512_factors_8_8_8_wgs_256_tpt_64_dp_ip_CI_sbcc_dirReg_intrinsicRead.kd
    .uniform_work_group_size: 1
    .uses_dynamic_stack: false
    .vgpr_count:     62
    .vgpr_spill_count: 0
    .wavefront_size: 64
amdhsa.target:   amdgcn-amd-amdhsa--gfx906
amdhsa.version:
  - 1
  - 2
...

	.end_amdgpu_metadata
